;; amdgpu-corpus repo=ROCm/rocFFT kind=compiled arch=gfx906 opt=O3
	.text
	.amdgcn_target "amdgcn-amd-amdhsa--gfx906"
	.amdhsa_code_object_version 6
	.protected	fft_rtc_back_len1617_factors_3_7_7_11_wgs_231_tpt_231_half_ip_CI_unitstride_sbrr_dirReg ; -- Begin function fft_rtc_back_len1617_factors_3_7_7_11_wgs_231_tpt_231_half_ip_CI_unitstride_sbrr_dirReg
	.globl	fft_rtc_back_len1617_factors_3_7_7_11_wgs_231_tpt_231_half_ip_CI_unitstride_sbrr_dirReg
	.p2align	8
	.type	fft_rtc_back_len1617_factors_3_7_7_11_wgs_231_tpt_231_half_ip_CI_unitstride_sbrr_dirReg,@function
fft_rtc_back_len1617_factors_3_7_7_11_wgs_231_tpt_231_half_ip_CI_unitstride_sbrr_dirReg: ; @fft_rtc_back_len1617_factors_3_7_7_11_wgs_231_tpt_231_half_ip_CI_unitstride_sbrr_dirReg
; %bb.0:
	s_load_dwordx2 s[2:3], s[4:5], 0x50
	s_load_dwordx4 s[8:11], s[4:5], 0x0
	s_load_dwordx2 s[12:13], s[4:5], 0x18
	v_mul_u32_u24_e32 v1, 0x11c, v0
	v_add_u32_sdwa v5, s6, v1 dst_sel:DWORD dst_unused:UNUSED_PAD src0_sel:DWORD src1_sel:WORD_1
	v_mov_b32_e32 v3, 0
	s_waitcnt lgkmcnt(0)
	v_cmp_lt_u64_e64 s[0:1], s[10:11], 2
	v_mov_b32_e32 v1, 0
	v_mov_b32_e32 v6, v3
	s_and_b64 vcc, exec, s[0:1]
	v_mov_b32_e32 v2, 0
	s_cbranch_vccnz .LBB0_8
; %bb.1:
	s_load_dwordx2 s[0:1], s[4:5], 0x10
	s_add_u32 s6, s12, 8
	s_addc_u32 s7, s13, 0
	v_mov_b32_e32 v1, 0
	v_mov_b32_e32 v2, 0
	s_waitcnt lgkmcnt(0)
	s_add_u32 s14, s0, 8
	s_addc_u32 s15, s1, 0
	s_mov_b64 s[16:17], 1
.LBB0_2:                                ; =>This Inner Loop Header: Depth=1
	s_load_dwordx2 s[18:19], s[14:15], 0x0
                                        ; implicit-def: $vgpr7_vgpr8
	s_waitcnt lgkmcnt(0)
	v_or_b32_e32 v4, s19, v6
	v_cmp_ne_u64_e32 vcc, 0, v[3:4]
	s_and_saveexec_b64 s[0:1], vcc
	s_xor_b64 s[20:21], exec, s[0:1]
	s_cbranch_execz .LBB0_4
; %bb.3:                                ;   in Loop: Header=BB0_2 Depth=1
	v_cvt_f32_u32_e32 v4, s18
	v_cvt_f32_u32_e32 v7, s19
	s_sub_u32 s0, 0, s18
	s_subb_u32 s1, 0, s19
	v_mac_f32_e32 v4, 0x4f800000, v7
	v_rcp_f32_e32 v4, v4
	v_mul_f32_e32 v4, 0x5f7ffffc, v4
	v_mul_f32_e32 v7, 0x2f800000, v4
	v_trunc_f32_e32 v7, v7
	v_mac_f32_e32 v4, 0xcf800000, v7
	v_cvt_u32_f32_e32 v7, v7
	v_cvt_u32_f32_e32 v4, v4
	v_mul_lo_u32 v8, s0, v7
	v_mul_hi_u32 v9, s0, v4
	v_mul_lo_u32 v11, s1, v4
	v_mul_lo_u32 v10, s0, v4
	v_add_u32_e32 v8, v9, v8
	v_add_u32_e32 v8, v8, v11
	v_mul_hi_u32 v9, v4, v10
	v_mul_lo_u32 v11, v4, v8
	v_mul_hi_u32 v13, v4, v8
	v_mul_hi_u32 v12, v7, v10
	v_mul_lo_u32 v10, v7, v10
	v_mul_hi_u32 v14, v7, v8
	v_add_co_u32_e32 v9, vcc, v9, v11
	v_addc_co_u32_e32 v11, vcc, 0, v13, vcc
	v_mul_lo_u32 v8, v7, v8
	v_add_co_u32_e32 v9, vcc, v9, v10
	v_addc_co_u32_e32 v9, vcc, v11, v12, vcc
	v_addc_co_u32_e32 v10, vcc, 0, v14, vcc
	v_add_co_u32_e32 v8, vcc, v9, v8
	v_addc_co_u32_e32 v9, vcc, 0, v10, vcc
	v_add_co_u32_e32 v4, vcc, v4, v8
	v_addc_co_u32_e32 v7, vcc, v7, v9, vcc
	v_mul_lo_u32 v8, s0, v7
	v_mul_hi_u32 v9, s0, v4
	v_mul_lo_u32 v10, s1, v4
	v_mul_lo_u32 v11, s0, v4
	v_add_u32_e32 v8, v9, v8
	v_add_u32_e32 v8, v8, v10
	v_mul_lo_u32 v12, v4, v8
	v_mul_hi_u32 v13, v4, v11
	v_mul_hi_u32 v14, v4, v8
	;; [unrolled: 1-line block ×3, first 2 shown]
	v_mul_lo_u32 v11, v7, v11
	v_mul_hi_u32 v9, v7, v8
	v_add_co_u32_e32 v12, vcc, v13, v12
	v_addc_co_u32_e32 v13, vcc, 0, v14, vcc
	v_mul_lo_u32 v8, v7, v8
	v_add_co_u32_e32 v11, vcc, v12, v11
	v_addc_co_u32_e32 v10, vcc, v13, v10, vcc
	v_addc_co_u32_e32 v9, vcc, 0, v9, vcc
	v_add_co_u32_e32 v8, vcc, v10, v8
	v_addc_co_u32_e32 v9, vcc, 0, v9, vcc
	v_add_co_u32_e32 v4, vcc, v4, v8
	v_addc_co_u32_e32 v9, vcc, v7, v9, vcc
	v_mad_u64_u32 v[7:8], s[0:1], v5, v9, 0
	v_mul_hi_u32 v10, v5, v4
	v_add_co_u32_e32 v11, vcc, v10, v7
	v_addc_co_u32_e32 v12, vcc, 0, v8, vcc
	v_mad_u64_u32 v[7:8], s[0:1], v6, v4, 0
	v_mad_u64_u32 v[9:10], s[0:1], v6, v9, 0
	v_add_co_u32_e32 v4, vcc, v11, v7
	v_addc_co_u32_e32 v4, vcc, v12, v8, vcc
	v_addc_co_u32_e32 v7, vcc, 0, v10, vcc
	v_add_co_u32_e32 v4, vcc, v4, v9
	v_addc_co_u32_e32 v9, vcc, 0, v7, vcc
	v_mul_lo_u32 v10, s19, v4
	v_mul_lo_u32 v11, s18, v9
	v_mad_u64_u32 v[7:8], s[0:1], s18, v4, 0
	v_add3_u32 v8, v8, v11, v10
	v_sub_u32_e32 v10, v6, v8
	v_mov_b32_e32 v11, s19
	v_sub_co_u32_e32 v7, vcc, v5, v7
	v_subb_co_u32_e64 v10, s[0:1], v10, v11, vcc
	v_subrev_co_u32_e64 v11, s[0:1], s18, v7
	v_subbrev_co_u32_e64 v10, s[0:1], 0, v10, s[0:1]
	v_cmp_le_u32_e64 s[0:1], s19, v10
	v_cndmask_b32_e64 v12, 0, -1, s[0:1]
	v_cmp_le_u32_e64 s[0:1], s18, v11
	v_cndmask_b32_e64 v11, 0, -1, s[0:1]
	v_cmp_eq_u32_e64 s[0:1], s19, v10
	v_cndmask_b32_e64 v10, v12, v11, s[0:1]
	v_add_co_u32_e64 v11, s[0:1], 2, v4
	v_addc_co_u32_e64 v12, s[0:1], 0, v9, s[0:1]
	v_add_co_u32_e64 v13, s[0:1], 1, v4
	v_addc_co_u32_e64 v14, s[0:1], 0, v9, s[0:1]
	v_subb_co_u32_e32 v8, vcc, v6, v8, vcc
	v_cmp_ne_u32_e64 s[0:1], 0, v10
	v_cmp_le_u32_e32 vcc, s19, v8
	v_cndmask_b32_e64 v10, v14, v12, s[0:1]
	v_cndmask_b32_e64 v12, 0, -1, vcc
	v_cmp_le_u32_e32 vcc, s18, v7
	v_cndmask_b32_e64 v7, 0, -1, vcc
	v_cmp_eq_u32_e32 vcc, s19, v8
	v_cndmask_b32_e32 v7, v12, v7, vcc
	v_cmp_ne_u32_e32 vcc, 0, v7
	v_cndmask_b32_e64 v7, v13, v11, s[0:1]
	v_cndmask_b32_e32 v8, v9, v10, vcc
	v_cndmask_b32_e32 v7, v4, v7, vcc
.LBB0_4:                                ;   in Loop: Header=BB0_2 Depth=1
	s_andn2_saveexec_b64 s[0:1], s[20:21]
	s_cbranch_execz .LBB0_6
; %bb.5:                                ;   in Loop: Header=BB0_2 Depth=1
	v_cvt_f32_u32_e32 v4, s18
	s_sub_i32 s20, 0, s18
	v_rcp_iflag_f32_e32 v4, v4
	v_mul_f32_e32 v4, 0x4f7ffffe, v4
	v_cvt_u32_f32_e32 v4, v4
	v_mul_lo_u32 v7, s20, v4
	v_mul_hi_u32 v7, v4, v7
	v_add_u32_e32 v4, v4, v7
	v_mul_hi_u32 v4, v5, v4
	v_mul_lo_u32 v7, v4, s18
	v_add_u32_e32 v8, 1, v4
	v_sub_u32_e32 v7, v5, v7
	v_subrev_u32_e32 v9, s18, v7
	v_cmp_le_u32_e32 vcc, s18, v7
	v_cndmask_b32_e32 v7, v7, v9, vcc
	v_cndmask_b32_e32 v4, v4, v8, vcc
	v_add_u32_e32 v8, 1, v4
	v_cmp_le_u32_e32 vcc, s18, v7
	v_cndmask_b32_e32 v7, v4, v8, vcc
	v_mov_b32_e32 v8, v3
.LBB0_6:                                ;   in Loop: Header=BB0_2 Depth=1
	s_or_b64 exec, exec, s[0:1]
	v_mul_lo_u32 v4, v8, s18
	v_mul_lo_u32 v11, v7, s19
	v_mad_u64_u32 v[9:10], s[0:1], v7, s18, 0
	s_load_dwordx2 s[0:1], s[6:7], 0x0
	s_add_u32 s16, s16, 1
	v_add3_u32 v4, v10, v11, v4
	v_sub_co_u32_e32 v5, vcc, v5, v9
	v_subb_co_u32_e32 v4, vcc, v6, v4, vcc
	s_waitcnt lgkmcnt(0)
	v_mul_lo_u32 v4, s0, v4
	v_mul_lo_u32 v6, s1, v5
	v_mad_u64_u32 v[1:2], s[0:1], s0, v5, v[1:2]
	s_addc_u32 s17, s17, 0
	s_add_u32 s6, s6, 8
	v_add3_u32 v2, v6, v2, v4
	v_mov_b32_e32 v4, s10
	v_mov_b32_e32 v5, s11
	s_addc_u32 s7, s7, 0
	v_cmp_ge_u64_e32 vcc, s[16:17], v[4:5]
	s_add_u32 s14, s14, 8
	s_addc_u32 s15, s15, 0
	s_cbranch_vccnz .LBB0_9
; %bb.7:                                ;   in Loop: Header=BB0_2 Depth=1
	v_mov_b32_e32 v5, v7
	v_mov_b32_e32 v6, v8
	s_branch .LBB0_2
.LBB0_8:
	v_mov_b32_e32 v8, v6
	v_mov_b32_e32 v7, v5
.LBB0_9:
	s_lshl_b64 s[0:1], s[10:11], 3
	s_add_u32 s0, s12, s0
	s_addc_u32 s1, s13, s1
	s_load_dwordx2 s[6:7], s[0:1], 0x0
	s_load_dwordx2 s[10:11], s[4:5], 0x20
                                        ; implicit-def: $vgpr6
                                        ; implicit-def: $vgpr9
                                        ; implicit-def: $vgpr16
                                        ; implicit-def: $vgpr15
                                        ; implicit-def: $vgpr12
                                        ; implicit-def: $vgpr11
                                        ; implicit-def: $vgpr10
	s_waitcnt lgkmcnt(0)
	v_mad_u64_u32 v[1:2], s[0:1], s6, v7, v[1:2]
	v_mul_lo_u32 v3, s6, v8
	v_mul_lo_u32 v4, s7, v7
	s_mov_b32 s0, 0x11bb4a5
	v_mul_hi_u32 v5, v0, s0
	v_cmp_gt_u64_e64 s[0:1], s[10:11], v[7:8]
	v_add3_u32 v2, v4, v2, v3
	v_lshlrev_b64 v[2:3], 2, v[1:2]
	v_mul_u32_u24_e32 v4, 0xe7, v5
	v_sub_u32_e32 v0, v0, v4
                                        ; implicit-def: $vgpr7
                                        ; implicit-def: $vgpr8
	s_and_saveexec_b64 s[4:5], s[0:1]
	s_cbranch_execz .LBB0_13
; %bb.10:
	v_mov_b32_e32 v1, 0
	v_mov_b32_e32 v4, s3
	v_add_co_u32_e32 v6, vcc, s2, v2
	v_addc_co_u32_e32 v7, vcc, v4, v3, vcc
	v_lshlrev_b64 v[4:5], 2, v[0:1]
	s_movk_i32 s6, 0x4d
	v_add_co_u32_e32 v4, vcc, v6, v4
	v_addc_co_u32_e32 v5, vcc, v7, v5, vcc
	v_add_co_u32_e32 v6, vcc, 0x1000, v4
	v_addc_co_u32_e32 v7, vcc, 0, v5, vcc
	global_load_dword v9, v[4:5], off
	global_load_dword v10, v[6:7], off offset:1140
	global_load_dword v15, v[6:7], off offset:216
	;; [unrolled: 1-line block ×5, first 2 shown]
	v_cmp_gt_u32_e32 vcc, s6, v0
                                        ; implicit-def: $vgpr6
                                        ; implicit-def: $vgpr8
                                        ; implicit-def: $vgpr7
	s_and_saveexec_b64 s[6:7], vcc
	s_cbranch_execz .LBB0_12
; %bb.11:
	v_add_co_u32_e32 v13, vcc, 0x1000, v4
	v_addc_co_u32_e32 v14, vcc, 0, v5, vcc
	global_load_dword v6, v[4:5], off offset:1848
	global_load_dword v7, v[4:5], off offset:4004
	;; [unrolled: 1-line block ×3, first 2 shown]
.LBB0_12:
	s_or_b64 exec, exec, s[6:7]
.LBB0_13:
	s_or_b64 exec, exec, s[4:5]
	s_waitcnt vmcnt(0)
	v_pk_add_f16 v1, v8, v7
	v_pk_add_f16 v4, v7, v8 neg_lo:[0,1] neg_hi:[0,1]
	v_pk_fma_f16 v13, v1, 0.5, v6 op_sel_hi:[1,0,1] neg_lo:[1,0,0] neg_hi:[1,0,0]
	s_movk_i32 s4, 0x3aee
	v_pk_fma_f16 v1, v4, s4, v13 op_sel:[0,0,1] op_sel_hi:[1,0,0] neg_lo:[1,0,0] neg_hi:[1,0,0]
	v_pk_fma_f16 v14, v4, s4, v13 op_sel:[0,0,1] op_sel_hi:[1,0,0]
	v_pk_add_f16 v4, v9, v16
	v_pk_add_f16 v4, v4, v15
	;; [unrolled: 1-line block ×3, first 2 shown]
	v_pk_add_f16 v15, v16, v15 neg_lo:[0,1] neg_hi:[0,1]
	v_pk_fma_f16 v9, v17, 0.5, v9 op_sel_hi:[1,0,1] neg_lo:[1,0,0] neg_hi:[1,0,0]
	v_pk_mul_f16 v15, v15, s4 op_sel_hi:[1,0]
	v_pk_add_f16 v16, v9, v15 op_sel:[0,1] op_sel_hi:[1,0] neg_lo:[0,1] neg_hi:[0,1]
	v_pk_add_f16 v9, v9, v15 op_sel:[0,1] op_sel_hi:[1,0]
	s_mov_b32 s5, 0xffff
	v_mad_u32_u24 v13, v0, 12, 0
	v_bfi_b32 v15, s5, v16, v9
	ds_write2_b32 v13, v4, v15 offset1:1
	v_bfi_b32 v4, s5, v9, v16
	v_pk_add_f16 v9, v12, v11
	v_pk_add_f16 v9, v9, v10
	v_pk_add_f16 v15, v11, v10
	v_pk_add_f16 v10, v11, v10 neg_lo:[0,1] neg_hi:[0,1]
	v_pk_fma_f16 v12, v15, 0.5, v12 op_sel_hi:[1,0,1] neg_lo:[1,0,0] neg_hi:[1,0,0]
	v_pk_mul_f16 v10, v10, s4 op_sel_hi:[1,0]
	v_pk_add_f16 v11, v12, v10 op_sel:[0,1] op_sel_hi:[1,0] neg_lo:[0,1] neg_hi:[0,1]
	v_pk_add_f16 v10, v12, v10 op_sel:[0,1] op_sel_hi:[1,0]
	ds_write_b32 v13, v4 offset:8
	v_add_u32_e32 v4, 0xad4, v13
	v_bfi_b32 v12, s5, v11, v10
	s_movk_i32 s4, 0x4d
	v_lshrrev_b32_e32 v5, 16, v1
	ds_write2_b32 v4, v9, v12 offset1:1
	v_bfi_b32 v4, s5, v10, v11
	v_cmp_gt_u32_e32 vcc, s4, v0
	ds_write_b32 v13, v4 offset:2780
	s_and_saveexec_b64 s[4:5], vcc
	s_cbranch_execz .LBB0_15
; %bb.14:
	v_pk_add_f16 v4, v7, v6
	v_pk_add_f16 v4, v8, v4
	s_mov_b32 s6, 0x5040100
	ds_write_b32 v13, v4 offset:5544
	v_add_u32_e32 v4, 0x15ac, v13
	v_perm_b32 v6, v14, v5, s6
	v_alignbit_b32 v7, v1, v14, 16
	ds_write2_b32 v4, v6, v7 offset1:1
.LBB0_15:
	s_or_b64 exec, exec, s[4:5]
	s_movk_i32 s4, 0xab
	v_mul_lo_u16_sdwa v4, v0, s4 dst_sel:DWORD dst_unused:UNUSED_PAD src0_sel:BYTE_0 src1_sel:DWORD
	v_lshrrev_b16_e32 v4, 9, v4
	v_mul_lo_u16_e32 v6, 3, v4
	v_sub_u16_e32 v12, v0, v6
	v_mov_b32_e32 v15, 6
	v_mul_u32_u24_sdwa v6, v12, v15 dst_sel:DWORD dst_unused:UNUSED_PAD src0_sel:BYTE_0 src1_sel:DWORD
	v_lshlrev_b32_e32 v16, 2, v6
	s_waitcnt lgkmcnt(0)
	s_barrier
	global_load_dwordx4 v[6:9], v16, s[8:9]
	global_load_dwordx2 v[10:11], v16, s[8:9] offset:16
	v_lshlrev_b32_e32 v16, 3, v0
	v_sub_u32_e32 v24, v13, v16
	v_add_u32_e32 v25, 0x700, v24
	ds_read2_b32 v[17:18], v24 offset1:231
	v_add_u32_e32 v26, 0xe40, v24
	ds_read_b32 v27, v24 offset:5544
	ds_read2_b32 v[19:20], v25 offset0:14 offset1:245
	ds_read2_b32 v[21:22], v26 offset0:12 offset1:243
	v_mov_b32_e32 v23, 2
	v_mul_u32_u24_e32 v4, 0x54, v4
	v_lshlrev_b32_sdwa v12, v23, v12 dst_sel:DWORD dst_unused:UNUSED_PAD src0_sel:DWORD src1_sel:BYTE_0
	v_add3_u32 v4, 0, v4, v12
	s_waitcnt lgkmcnt(3)
	v_lshrrev_b32_e32 v12, 16, v18
	s_waitcnt lgkmcnt(2)
	v_lshrrev_b32_e32 v28, 16, v27
	s_waitcnt lgkmcnt(1)
	v_lshrrev_b32_e32 v29, 16, v19
	s_waitcnt lgkmcnt(0)
	v_lshrrev_b32_e32 v31, 16, v21
	v_lshrrev_b32_e32 v32, 16, v22
	v_lshrrev_b32_e32 v30, 16, v20
	s_mov_b32 s4, 0xbcab
	s_movk_i32 s5, 0x2b26
	s_mov_b32 s7, 0xb574
	s_mov_b32 s6, 0xb70e
	;; [unrolled: 1-line block ×3, first 2 shown]
	s_waitcnt vmcnt(0)
	s_barrier
	s_movk_i32 s13, 0x3574
	s_movk_i32 s10, 0x39e0
	s_mov_b32 s11, 0xb9e0
	s_movk_i32 s14, 0x87
	v_mul_f16_sdwa v33, v7, v29 dst_sel:DWORD dst_unused:UNUSED_PAD src0_sel:WORD_1 src1_sel:DWORD
	v_mul_f16_sdwa v35, v7, v19 dst_sel:DWORD dst_unused:UNUSED_PAD src0_sel:WORD_1 src1_sel:DWORD
	;; [unrolled: 1-line block ×12, first 2 shown]
	v_fma_f16 v19, v7, v19, v33
	v_fma_f16 v7, v7, v29, -v35
	v_fma_f16 v12, v6, v12, -v37
	;; [unrolled: 1-line block ×3, first 2 shown]
	v_fma_f16 v6, v6, v18, v38
	v_fma_f16 v9, v9, v21, v40
	v_fma_f16 v18, v10, v22, v41
	v_fma_f16 v10, v10, v32, -v42
	v_fma_f16 v21, v11, v27, v43
	v_fma_f16 v11, v11, v28, -v44
	v_fma_f16 v20, v8, v20, v34
	v_fma_f16 v8, v8, v30, -v36
	v_add_f16_e32 v22, v6, v21
	v_sub_f16_e32 v6, v6, v21
	v_add_f16_e32 v21, v12, v11
	v_sub_f16_e32 v11, v12, v11
	;; [unrolled: 2-line block ×6, first 2 shown]
	v_add_f16_e32 v27, v12, v22
	v_add_f16_e32 v28, v19, v21
	v_sub_f16_e32 v29, v22, v10
	v_sub_f16_e32 v30, v10, v12
	;; [unrolled: 1-line block ×4, first 2 shown]
	v_add_f16_e32 v33, v9, v18
	v_sub_f16_e32 v34, v9, v18
	v_add_f16_e32 v35, v8, v7
	v_sub_f16_e32 v36, v8, v7
	v_add_f16_e32 v10, v10, v27
	v_add_f16_e32 v20, v20, v28
	v_sub_f16_e32 v9, v6, v9
	v_sub_f16_e32 v8, v11, v8
	v_add_f16_e32 v27, v33, v6
	v_add_f16_e32 v28, v35, v11
	v_mul_f16_e32 v29, 0x3a52, v29
	v_mul_f16_e32 v31, 0x3a52, v31
	;; [unrolled: 1-line block ×4, first 2 shown]
	v_add_f16_e32 v35, v10, v17
	v_add_f16_sdwa v17, v20, v17 dst_sel:DWORD dst_unused:UNUSED_PAD src0_sel:DWORD src1_sel:WORD_1
	v_fma_f16 v10, v10, s4, v35
	v_fma_f16 v20, v20, s4, v17
	v_pack_b32_f16 v17, v35, v17
	v_fma_f16 v35, v30, s5, v29
	v_fma_f16 v36, v32, s5, v31
	;; [unrolled: 1-line block ×4, first 2 shown]
	v_add_f16_e32 v35, v35, v10
	v_add_f16_e32 v36, v36, v20
	v_fma_f16 v37, v27, s6, v37
	v_fma_f16 v38, v28, s6, v38
	v_add_f16_e32 v39, v38, v35
	v_sub_f16_e32 v40, v36, v37
	v_pack_b32_f16 v39, v39, v40
	v_sub_f16_e32 v6, v18, v6
	ds_write2_b32 v4, v17, v39 offset1:3
	v_sub_f16_e32 v17, v19, v21
	v_sub_f16_e32 v7, v7, v11
	v_fma_f16 v19, v6, s12, -v33
	v_mul_f16_e32 v6, 0xbb00, v6
	v_sub_f16_e32 v12, v12, v22
	v_mul_f16_e32 v11, 0x2b26, v30
	v_mul_f16_e32 v18, 0x2b26, v32
	v_fma_f16 v6, v9, s13, -v6
	v_fma_f16 v9, v7, s12, -v34
	v_mul_f16_e32 v7, 0xbb00, v7
	v_fma_f16 v11, v12, s10, -v11
	v_fma_f16 v12, v12, s11, -v29
	;; [unrolled: 1-line block ×5, first 2 shown]
	v_add_f16_e32 v8, v11, v10
	v_add_f16_e32 v10, v12, v10
	;; [unrolled: 1-line block ×3, first 2 shown]
	v_fma_f16 v6, v27, s6, v6
	v_fma_f16 v7, v28, s6, v7
	v_add_f16_e32 v11, v18, v20
	v_fma_f16 v17, v27, s6, v19
	v_fma_f16 v9, v28, s6, v9
	v_add_f16_e32 v18, v7, v10
	v_sub_f16_e32 v19, v12, v6
	v_pack_b32_f16 v18, v18, v19
	v_sub_f16_e32 v19, v8, v9
	v_add_f16_e32 v8, v9, v8
	v_sub_f16_e32 v9, v11, v17
	v_sub_f16_e32 v7, v10, v7
	v_add_f16_e32 v6, v6, v12
	v_add_f16_e32 v20, v17, v11
	v_sub_f16_e32 v10, v35, v38
	v_add_f16_e32 v11, v37, v36
	v_pack_b32_f16 v8, v8, v9
	v_pack_b32_f16 v6, v7, v6
	;; [unrolled: 1-line block ×3, first 2 shown]
	ds_write2_b32 v4, v8, v6 offset0:12 offset1:15
	v_pack_b32_f16 v6, v10, v11
	ds_write2_b32 v4, v18, v19 offset0:6 offset1:9
	ds_write_b32 v4, v6 offset:72
	v_mul_lo_u16_sdwa v4, v0, s14 dst_sel:DWORD dst_unused:UNUSED_PAD src0_sel:BYTE_0 src1_sel:DWORD
	v_sub_u16_sdwa v6, v0, v4 dst_sel:DWORD dst_unused:UNUSED_PAD src0_sel:DWORD src1_sel:BYTE_1
	v_lshrrev_b16_e32 v6, 1, v6
	v_and_b32_e32 v6, 0x7f, v6
	v_add_u16_sdwa v4, v6, v4 dst_sel:DWORD dst_unused:UNUSED_PAD src0_sel:DWORD src1_sel:BYTE_1
	v_lshrrev_b16_e32 v4, 4, v4
	v_and_b32_e32 v12, 15, v4
	v_mul_lo_u16_e32 v4, 21, v12
	v_sub_u16_e32 v21, v0, v4
	v_mul_u32_u24_sdwa v4, v21, v15 dst_sel:DWORD dst_unused:UNUSED_PAD src0_sel:BYTE_0 src1_sel:DWORD
	v_lshlrev_b32_e32 v4, 2, v4
	s_waitcnt lgkmcnt(0)
	s_barrier
	global_load_dwordx4 v[6:9], v4, s[8:9] offset:72
	global_load_dwordx2 v[10:11], v4, s[8:9] offset:88
	ds_read2_b32 v[17:18], v25 offset0:14 offset1:245
	s_movk_i32 s14, 0x24c
	v_mul_u32_u24_sdwa v12, v12, s14 dst_sel:DWORD dst_unused:UNUSED_PAD src0_sel:WORD_0 src1_sel:DWORD
	s_waitcnt lgkmcnt(0)
	v_lshrrev_b32_e32 v4, 16, v17
	s_waitcnt vmcnt(1)
	v_mul_f16_sdwa v15, v7, v17 dst_sel:DWORD dst_unused:UNUSED_PAD src0_sel:WORD_1 src1_sel:DWORD
	v_mul_f16_sdwa v19, v7, v4 dst_sel:DWORD dst_unused:UNUSED_PAD src0_sel:WORD_1 src1_sel:DWORD
	v_fma_f16 v15, v7, v4, -v15
	v_lshrrev_b32_e32 v4, 16, v18
	v_fma_f16 v17, v7, v17, v19
	ds_read2_b32 v[19:20], v24 offset1:231
	v_mul_f16_sdwa v7, v8, v4 dst_sel:DWORD dst_unused:UNUSED_PAD src0_sel:WORD_1 src1_sel:DWORD
	v_fma_f16 v22, v8, v18, v7
	v_mul_f16_sdwa v7, v8, v18 dst_sel:DWORD dst_unused:UNUSED_PAD src0_sel:WORD_1 src1_sel:DWORD
	v_fma_f16 v18, v8, v4, -v7
	ds_read2_b32 v[7:8], v26 offset0:12 offset1:243
	s_waitcnt lgkmcnt(1)
	v_lshrrev_b32_e32 v4, 16, v20
	v_mul_f16_sdwa v25, v6, v20 dst_sel:DWORD dst_unused:UNUSED_PAD src0_sel:WORD_1 src1_sel:DWORD
	v_fma_f16 v25, v6, v4, -v25
	v_mul_f16_sdwa v4, v6, v4 dst_sel:DWORD dst_unused:UNUSED_PAD src0_sel:WORD_1 src1_sel:DWORD
	v_fma_f16 v20, v6, v20, v4
	s_waitcnt lgkmcnt(0)
	v_lshrrev_b32_e32 v4, 16, v7
	v_mul_f16_sdwa v6, v9, v7 dst_sel:DWORD dst_unused:UNUSED_PAD src0_sel:WORD_1 src1_sel:DWORD
	v_fma_f16 v26, v9, v4, -v6
	ds_read_b32 v6, v24 offset:5544
	v_mul_f16_sdwa v4, v9, v4 dst_sel:DWORD dst_unused:UNUSED_PAD src0_sel:WORD_1 src1_sel:DWORD
	v_fma_f16 v27, v9, v7, v4
	v_lshrrev_b32_e32 v4, 16, v8
	s_waitcnt vmcnt(0)
	v_mul_f16_sdwa v7, v10, v4 dst_sel:DWORD dst_unused:UNUSED_PAD src0_sel:WORD_1 src1_sel:DWORD
	v_fma_f16 v24, v10, v8, v7
	v_mul_f16_sdwa v7, v10, v8 dst_sel:DWORD dst_unused:UNUSED_PAD src0_sel:WORD_1 src1_sel:DWORD
	v_fma_f16 v28, v10, v4, -v7
	s_waitcnt lgkmcnt(0)
	v_lshrrev_b32_e32 v4, 16, v6
	v_mul_f16_sdwa v7, v11, v4 dst_sel:DWORD dst_unused:UNUSED_PAD src0_sel:WORD_1 src1_sel:DWORD
	v_fma_f16 v29, v11, v6, v7
	v_mul_f16_sdwa v6, v11, v6 dst_sel:DWORD dst_unused:UNUSED_PAD src0_sel:WORD_1 src1_sel:DWORD
	v_fma_f16 v30, v11, v4, -v6
	v_add_f16_e32 v4, v20, v29
	v_add_f16_e32 v6, v17, v24
	;; [unrolled: 1-line block ×4, first 2 shown]
	v_sub_f16_e32 v9, v6, v4
	v_sub_f16_e32 v4, v4, v7
	;; [unrolled: 1-line block ×3, first 2 shown]
	v_add_f16_e32 v7, v7, v8
	v_sub_f16_e32 v6, v25, v30
	v_sub_f16_e32 v8, v15, v28
	v_add_f16_e32 v25, v25, v30
	v_add_f16_e32 v28, v15, v28
	v_sub_f16_e32 v10, v26, v18
	v_sub_f16_e32 v24, v17, v24
	v_add_f16_e32 v17, v18, v26
	v_add_f16_e32 v15, v28, v25
	;; [unrolled: 1-line block ×3, first 2 shown]
	v_sub_f16_e32 v18, v27, v22
	v_add_f16_e32 v22, v17, v15
	v_sub_f16_e32 v32, v10, v8
	v_sub_f16_e32 v33, v6, v10
	;; [unrolled: 1-line block ×3, first 2 shown]
	v_add_f16_e32 v34, v11, v6
	v_add_f16_e32 v6, v7, v19
	v_add_f16_sdwa v15, v22, v19 dst_sel:DWORD dst_unused:UNUSED_PAD src0_sel:DWORD src1_sel:WORD_1
	v_lshlrev_b32_sdwa v19, v23, v21 dst_sel:DWORD dst_unused:UNUSED_PAD src0_sel:DWORD src1_sel:BYTE_0
	v_add3_u32 v12, 0, v12, v19
	v_sub_f16_e32 v19, v25, v17
	v_sub_f16_e32 v20, v20, v29
	;; [unrolled: 1-line block ×3, first 2 shown]
	v_add_f16_e32 v17, v18, v24
	v_sub_f16_e32 v23, v18, v24
	v_mul_f16_e32 v19, 0x3a52, v19
	v_sub_f16_e32 v18, v20, v18
	v_add_f16_e32 v26, v17, v20
	v_mul_f16_e32 v23, 0x3846, v23
	v_fma_f16 v22, v22, s4, v15
	v_fma_f16 v17, v21, s5, v19
	v_sub_f16_e32 v20, v24, v20
	v_mul_f16_e32 v4, 0x3a52, v4
	v_mul_f16_e32 v32, 0x3846, v32
	;; [unrolled: 1-line block ×4, first 2 shown]
	v_add_f16_e32 v27, v17, v22
	v_fma_f16 v17, v18, s7, v23
	v_sub_f16_e32 v25, v28, v25
	v_mul_f16_e32 v21, 0x2b26, v21
	v_fma_f16 v23, v20, s12, -v23
	v_mul_f16_e32 v20, 0xbb00, v20
	v_fma_f16 v7, v7, s4, v6
	v_fma_f16 v10, v9, s10, -v10
	v_fma_f16 v9, v9, s11, -v4
	;; [unrolled: 1-line block ×7, first 2 shown]
	v_add_f16_e32 v35, v10, v7
	v_add_f16_e32 v9, v9, v7
	v_fma_f16 v8, v34, s6, v8
	v_fma_f16 v36, v34, s6, v11
	v_add_f16_e32 v20, v21, v22
	v_add_f16_e32 v22, v19, v22
	v_fma_f16 v21, v26, s6, v23
	v_fma_f16 v23, v26, s6, v18
	v_add_f16_e32 v10, v36, v9
	v_sub_f16_e32 v11, v35, v8
	v_add_f16_e32 v8, v8, v35
	v_sub_f16_e32 v9, v9, v36
	v_fma_f16 v4, v31, s5, v4
	v_fma_f16 v31, v33, s7, v32
	v_add_f16_e32 v19, v21, v20
	v_sub_f16_e32 v21, v20, v21
	v_add_f16_e32 v20, v23, v22
	v_add_f16_e32 v4, v4, v7
	v_fma_f16 v31, v34, s6, v31
	v_fma_f16 v29, v26, s6, v17
	v_sub_f16_e32 v18, v22, v23
	v_pack_b32_f16 v22, v8, v21
	v_pack_b32_f16 v23, v9, v20
	v_add_f16_e32 v7, v31, v4
	v_sub_f16_e32 v4, v4, v31
	s_barrier
	v_sub_f16_e32 v17, v27, v29
	ds_write2_b32 v12, v22, v23 offset0:84 offset1:105
	v_add_f16_e32 v22, v29, v27
	v_pack_b32_f16 v30, v6, v15
	v_pack_b32_f16 v31, v7, v17
	;; [unrolled: 1-line block ×5, first 2 shown]
	s_movk_i32 s4, 0x93
	ds_write2_b32 v12, v30, v31 offset1:21
	ds_write2_b32 v12, v24, v25 offset0:42 offset1:63
	ds_write_b32 v12, v23 offset:504
	v_cmp_gt_u32_e32 vcc, s4, v0
	v_lshrrev_b32_e32 v12, 16, v14
	s_waitcnt lgkmcnt(0)
	s_barrier
	s_waitcnt lgkmcnt(0)
                                        ; implicit-def: $vgpr25
                                        ; implicit-def: $vgpr23
                                        ; implicit-def: $vgpr24
	s_and_saveexec_b64 s[4:5], vcc
	s_cbranch_execnz .LBB0_18
; %bb.16:
	s_or_b64 exec, exec, s[4:5]
	s_and_b64 s[0:1], s[0:1], vcc
	s_and_saveexec_b64 s[4:5], s[0:1]
	s_cbranch_execnz .LBB0_19
.LBB0_17:
	s_endpgm
.LBB0_18:
	v_sub_u32_e32 v1, 0, v16
	v_add_u32_e32 v1, v13, v1
	v_add_u32_e32 v4, 0x400, v1
	;; [unrolled: 1-line block ×3, first 2 shown]
	ds_read2_b32 v[6:7], v1 offset1:147
	v_add_u32_e32 v5, 0x800, v1
	ds_read2_b32 v[10:11], v4 offset0:38 offset1:185
	ds_read2_b32 v[12:13], v8 offset0:24 offset1:171
	;; [unrolled: 1-line block ×3, first 2 shown]
	ds_read_b32 v23, v1 offset:5880
	v_add_u32_e32 v1, 0xd00, v1
	ds_read2_b32 v[4:5], v1 offset0:50 offset1:197
	s_waitcnt lgkmcnt(5)
	v_lshrrev_b32_e32 v15, 16, v6
	s_waitcnt lgkmcnt(3)
	v_lshrrev_b32_e32 v1, 16, v12
	v_lshrrev_b32_e32 v24, 16, v13
	s_waitcnt lgkmcnt(1)
	v_lshrrev_b32_e32 v25, 16, v23
	v_lshrrev_b32_e32 v17, 16, v7
	;; [unrolled: 1-line block ×6, first 2 shown]
	s_waitcnt lgkmcnt(0)
	v_lshrrev_b32_e32 v22, 16, v4
	v_lshrrev_b32_e32 v14, 16, v5
	s_or_b64 exec, exec, s[4:5]
	s_and_b64 s[0:1], s[0:1], vcc
	s_and_saveexec_b64 s[4:5], s[0:1]
	s_cbranch_execz .LBB0_17
.LBB0_19:
	v_mul_u32_u24_e32 v16, 10, v0
	v_lshlrev_b32_e32 v16, 2, v16
	global_load_dwordx2 v[34:35], v16, s[8:9] offset:608
	global_load_dwordx4 v[26:29], v16, s[8:9] offset:576
	global_load_dwordx4 v[30:33], v16, s[8:9] offset:592
	s_movk_i32 s5, 0x3482
	s_mov_b32 s0, 0xbbad
	s_mov_b32 s4, 0xb853
	s_movk_i32 s1, 0x3abb
	s_movk_i32 s9, 0x3a0c
	s_mov_b32 s7, 0xbb47
	s_movk_i32 s8, 0x3beb
	s_mov_b32 s6, 0xb93d
	;; [unrolled: 2-line block ×3, first 2 shown]
	s_mov_b32 s12, 0xbbeb
	s_movk_i32 s13, 0x3853
	s_mov_b32 s14, 0xb482
	s_movk_i32 s15, 0x3b47
	v_add_co_u32_e32 v2, vcc, s2, v2
	s_waitcnt vmcnt(2)
	v_mul_f16_sdwa v16, v23, v35 dst_sel:DWORD dst_unused:UNUSED_PAD src0_sel:DWORD src1_sel:WORD_1
	s_waitcnt vmcnt(1)
	v_mul_f16_sdwa v36, v7, v26 dst_sel:DWORD dst_unused:UNUSED_PAD src0_sel:DWORD src1_sel:WORD_1
	v_mul_f16_sdwa v37, v17, v26 dst_sel:DWORD dst_unused:UNUSED_PAD src0_sel:DWORD src1_sel:WORD_1
	;; [unrolled: 1-line block ×5, first 2 shown]
	v_fma_f16 v16, v25, v35, -v16
	v_fma_f16 v17, v17, v26, -v36
	v_mul_f16_sdwa v41, v18, v27 dst_sel:DWORD dst_unused:UNUSED_PAD src0_sel:DWORD src1_sel:WORD_1
	v_mul_f16_sdwa v42, v24, v34 dst_sel:DWORD dst_unused:UNUSED_PAD src0_sel:DWORD src1_sel:WORD_1
	s_waitcnt vmcnt(0)
	v_mul_f16_sdwa v43, v12, v33 dst_sel:DWORD dst_unused:UNUSED_PAD src0_sel:DWORD src1_sel:WORD_1
	v_mul_f16_sdwa v44, v11, v28 dst_sel:DWORD dst_unused:UNUSED_PAD src0_sel:DWORD src1_sel:WORD_1
	;; [unrolled: 1-line block ×4, first 2 shown]
	v_fma_f16 v23, v23, v35, v38
	v_fma_f16 v24, v24, v34, -v39
	v_fma_f16 v18, v18, v27, -v40
	v_fma_f16 v7, v7, v26, v37
	v_add_f16_e32 v25, v16, v17
	v_mul_f16_sdwa v45, v19, v28 dst_sel:DWORD dst_unused:UNUSED_PAD src0_sel:DWORD src1_sel:WORD_1
	v_mul_f16_sdwa v46, v1, v33 dst_sel:DWORD dst_unused:UNUSED_PAD src0_sel:DWORD src1_sel:WORD_1
	v_mul_f16_sdwa v48, v8, v29 dst_sel:DWORD dst_unused:UNUSED_PAD src0_sel:DWORD src1_sel:WORD_1
	v_mul_f16_sdwa v49, v21, v29 dst_sel:DWORD dst_unused:UNUSED_PAD src0_sel:DWORD src1_sel:WORD_1
	v_mul_f16_sdwa v51, v4, v31 dst_sel:DWORD dst_unused:UNUSED_PAD src0_sel:DWORD src1_sel:WORD_1
	v_mul_f16_sdwa v54, v22, v31 dst_sel:DWORD dst_unused:UNUSED_PAD src0_sel:DWORD src1_sel:WORD_1
	v_fma_f16 v13, v13, v34, v42
	v_fma_f16 v10, v10, v27, v41
	v_fma_f16 v1, v1, v33, -v43
	v_fma_f16 v19, v19, v28, -v44
	;; [unrolled: 1-line block ×3, first 2 shown]
	v_fma_f16 v5, v5, v32, v50
	v_sub_f16_e32 v26, v7, v23
	v_add_f16_e32 v27, v24, v18
	v_sub_f16_e32 v32, v17, v16
	v_mul_f16_e32 v41, 0xbbad, v25
	v_mul_f16_sdwa v52, v9, v30 dst_sel:DWORD dst_unused:UNUSED_PAD src0_sel:DWORD src1_sel:WORD_1
	v_mul_f16_sdwa v53, v20, v30 dst_sel:DWORD dst_unused:UNUSED_PAD src0_sel:DWORD src1_sel:WORD_1
	v_fma_f16 v11, v11, v28, v45
	v_fma_f16 v12, v12, v33, v46
	v_fma_f16 v21, v21, v29, -v48
	v_fma_f16 v8, v8, v29, v49
	v_fma_f16 v22, v22, v31, -v51
	v_fma_f16 v4, v4, v31, v54
	v_sub_f16_e32 v28, v10, v13
	v_add_f16_e32 v29, v1, v19
	v_add_f16_e32 v31, v23, v7
	v_sub_f16_e32 v34, v18, v24
	v_mul_f16_e32 v42, 0x3abb, v27
	v_mul_f16_e32 v43, 0xb482, v32
	v_fma_f16 v49, v26, s5, v41
	v_fma_f16 v20, v20, v30, -v52
	v_fma_f16 v9, v9, v30, v53
	v_sub_f16_e32 v30, v11, v12
	v_add_f16_e32 v33, v13, v10
	v_add_f16_e32 v35, v14, v21
	v_mul_f16_e32 v44, 0x3853, v34
	v_mul_f16_e32 v45, 0xb93d, v29
	v_fma_f16 v50, v28, s4, v42
	v_fma_f16 v51, v31, s0, v43
	v_add_f16_e32 v49, v15, v49
	v_sub_f16_e32 v36, v8, v5
	v_add_f16_e32 v37, v22, v20
	v_sub_f16_e32 v40, v19, v1
	v_mul_f16_e32 v46, 0x36a6, v35
	v_fma_f16 v52, v33, s1, v44
	v_fma_f16 v53, v30, s9, v45
	v_add_f16_e32 v51, v6, v51
	v_add_f16_e32 v49, v49, v50
	v_sub_f16_e32 v38, v9, v4
	v_add_f16_e32 v39, v12, v11
	v_mul_f16_e32 v47, 0xb08e, v37
	v_mul_f16_e32 v48, 0xba0c, v40
	v_fma_f16 v54, v36, s7, v46
	v_add_f16_e32 v50, v51, v52
	v_add_f16_e32 v49, v49, v53
	v_sub_f16_e32 v52, v21, v14
	v_fma_f16 v55, v38, s8, v47
	v_fma_f16 v56, v39, s6, v48
	v_add_f16_e32 v49, v49, v54
	v_add_f16_e32 v51, v5, v8
	v_mul_f16_e32 v53, 0x3b47, v52
	v_add_f16_e32 v49, v49, v55
	v_add_f16_e32 v50, v50, v56
	v_fma_f16 v54, v51, s10, v53
	v_sub_f16_e32 v55, v20, v22
	v_add_f16_e32 v50, v50, v54
	v_add_f16_e32 v54, v4, v9
	v_mul_f16_e32 v56, 0xbbeb, v55
	v_fma_f16 v57, v54, s11, v56
	v_add_f16_e32 v50, v50, v57
	v_mul_f16_e32 v57, 0xb93d, v25
	v_fma_f16 v58, v26, s9, v57
	v_mul_f16_e32 v59, 0xb08e, v27
	v_add_f16_e32 v58, v15, v58
	v_fma_f16 v60, v28, s12, v59
	v_add_f16_e32 v58, v58, v60
	v_mul_f16_e32 v60, 0x3abb, v29
	v_fma_f16 v61, v30, s13, v60
	v_add_f16_e32 v58, v58, v61
	v_mul_f16_e32 v61, 0xbbad, v35
	v_fma_f16 v62, v36, s5, v61
	v_add_f16_e32 v58, v58, v62
	v_mul_f16_e32 v62, 0x36a6, v37
	v_fma_f16 v63, v38, s7, v62
	v_add_f16_e32 v58, v58, v63
	v_mul_f16_e32 v63, 0xba0c, v32
	v_fma_f16 v64, v31, s6, v63
	v_mul_f16_e32 v65, 0x3beb, v34
	v_add_f16_e32 v64, v6, v64
	v_fma_f16 v66, v33, s11, v65
	v_add_f16_e32 v64, v64, v66
	v_mul_f16_e32 v66, 0xb853, v40
	v_fma_f16 v67, v39, s1, v66
	v_add_f16_e32 v64, v64, v67
	v_mul_f16_e32 v67, 0xb482, v52
	v_fma_f16 v68, v51, s0, v67
	;; [unrolled: 15-line block ×4, first 2 shown]
	v_add_f16_e32 v76, v76, v80
	v_mul_f16_e32 v80, 0xba0c, v55
	v_fma_f16 v81, v54, s6, v80
	v_add_f16_e32 v76, v76, v81
	v_mul_f16_e32 v81, 0x36a6, v25
	v_fma_f16 v82, v26, s15, v81
	v_mul_f16_e32 v83, 0xb93d, v27
	v_add_f16_e32 v82, v15, v82
	v_fma_f16 v84, v28, s9, v83
	v_add_f16_e32 v82, v82, v84
	v_mul_f16_e32 v84, 0xbbad, v29
	v_fma_f16 v85, v30, s14, v84
	v_add_f16_e32 v82, v82, v85
	v_mul_f16_e32 v85, 0xb08e, v35
	v_add_f16_e32 v7, v6, v7
	v_fma_f16 v86, v36, s12, v85
	v_add_f16_e32 v7, v7, v10
	v_add_f16_e32 v82, v82, v86
	v_mul_f16_e32 v86, 0x3abb, v37
	v_add_f16_e32 v7, v7, v11
	v_fma_f16 v87, v38, s4, v86
	v_add_f16_e32 v7, v7, v8
	v_add_f16_e32 v82, v82, v87
	v_mul_f16_e32 v87, 0xbb47, v32
	v_add_f16_e32 v7, v7, v9
	v_fma_f16 v88, v31, s10, v87
	v_mul_f16_e32 v89, 0xba0c, v34
	v_add_f16_e32 v4, v4, v7
	v_add_f16_e32 v88, v6, v88
	v_fma_f16 v90, v33, s6, v89
	v_add_f16_e32 v4, v5, v4
	v_add_f16_e32 v5, v15, v17
	;; [unrolled: 1-line block ×3, first 2 shown]
	v_mul_f16_e32 v90, 0x3482, v40
	v_add_f16_e32 v5, v5, v18
	v_fma_f16 v91, v39, s0, v90
	v_add_f16_e32 v5, v5, v19
	v_add_f16_e32 v88, v88, v91
	v_mul_f16_e32 v91, 0x3beb, v52
	v_add_f16_e32 v5, v5, v21
	v_fma_f16 v92, v51, s11, v91
	v_add_f16_e32 v5, v5, v20
	v_add_f16_e32 v88, v88, v92
	v_mul_f16_e32 v92, 0x3853, v55
	v_add_f16_e32 v5, v22, v5
	v_fma_f16 v93, v54, s1, v92
	v_mul_f16_e32 v25, 0x3abb, v25
	v_add_f16_e32 v5, v14, v5
	v_add_f16_e32 v88, v88, v93
	v_fma_f16 v93, v26, s13, v25
	v_mul_f16_e32 v27, 0x36a6, v27
	v_add_f16_e32 v1, v1, v5
	;; [unrolled: 4-line block ×4, first 2 shown]
	v_fma_f16 v1, v26, s14, v41
	v_add_f16_e32 v93, v93, v94
	v_fma_f16 v94, v36, s9, v35
	v_add_f16_e32 v1, v15, v1
	v_fma_f16 v7, v28, s13, v42
	s_mov_b32 s9, 0xba0c
	v_add_f16_e32 v1, v1, v7
	v_fma_f16 v7, v30, s9, v45
	v_add_f16_e32 v1, v1, v7
	v_fma_f16 v7, v36, s15, v46
	;; [unrolled: 2-line block ×3, first 2 shown]
	v_add_f16_e32 v7, v1, v7
	v_fma_f16 v1, v31, s0, -v43
	v_add_f16_e32 v1, v6, v1
	v_fma_f16 v8, v33, s1, -v44
	;; [unrolled: 2-line block ×5, first 2 shown]
	v_add_f16_e32 v8, v1, v8
	v_fma_f16 v1, v26, s9, v57
	v_add_f16_e32 v1, v15, v1
	v_fma_f16 v9, v28, s8, v59
	;; [unrolled: 2-line block ×5, first 2 shown]
	v_add_f16_e32 v9, v1, v9
	v_fma_f16 v1, v31, s6, -v63
	v_add_f16_e32 v1, v6, v1
	v_fma_f16 v10, v33, s11, -v65
	;; [unrolled: 2-line block ×5, first 2 shown]
	v_add_f16_e32 v10, v1, v10
	v_fma_f16 v1, v26, s12, v69
	v_add_f16_e32 v1, v15, v1
	v_fma_f16 v11, v28, s5, v71
	;; [unrolled: 2-line block ×5, first 2 shown]
	v_add_f16_e32 v11, v1, v11
	v_fma_f16 v1, v31, s11, -v75
	v_add_f16_e32 v4, v12, v4
	v_add_f16_e32 v1, v6, v1
	v_fma_f16 v12, v33, s0, -v77
	v_add_f16_e32 v1, v1, v12
	v_fma_f16 v12, v39, s10, -v78
	;; [unrolled: 2-line block ×4, first 2 shown]
	v_add_f16_e32 v12, v1, v12
	v_fma_f16 v1, v26, s7, v81
	v_add_f16_e32 v4, v13, v4
	v_add_f16_e32 v1, v15, v1
	v_fma_f16 v13, v28, s9, v83
	v_add_f16_e32 v1, v1, v13
	v_fma_f16 v13, v30, s5, v84
	;; [unrolled: 2-line block ×4, first 2 shown]
	v_add_f16_e32 v13, v1, v13
	v_fma_f16 v1, v31, s10, -v87
	v_add_f16_e32 v1, v6, v1
	v_fma_f16 v14, v33, s6, -v89
	;; [unrolled: 2-line block ×5, first 2 shown]
	v_add_f16_e32 v14, v1, v14
	v_fma_f16 v1, v26, s4, v25
	v_add_f16_e32 v1, v15, v1
	v_fma_f16 v15, v28, s7, v27
	;; [unrolled: 2-line block ×3, first 2 shown]
	v_mul_f16_e32 v37, 0xbbad, v37
	v_add_f16_e32 v1, v1, v15
	v_fma_f16 v15, v36, s9, v35
	v_add_f16_e32 v93, v93, v94
	v_fma_f16 v94, v38, s5, v37
	v_mul_f16_e32 v32, 0xb853, v32
	v_add_f16_e32 v1, v1, v15
	v_fma_f16 v15, v38, s14, v37
	v_add_f16_e32 v93, v93, v94
	v_fma_f16 v94, v31, s1, v32
	v_mul_f16_e32 v34, 0xbb47, v34
	v_add_f16_e32 v15, v1, v15
	v_fma_f16 v1, v31, s1, -v32
	v_add_f16_e32 v94, v6, v94
	v_mul_f16_e32 v40, 0xbbeb, v40
	v_add_f16_e32 v1, v6, v1
	v_fma_f16 v6, v33, s10, -v34
	v_mul_f16_e32 v52, 0xba0c, v52
	v_add_f16_e32 v1, v1, v6
	v_fma_f16 v6, v39, s11, -v40
	;; [unrolled: 3-line block ×3, first 2 shown]
	v_add_f16_e32 v1, v1, v6
	v_fma_f16 v6, v54, s0, -v55
	v_fma_f16 v95, v33, s10, v34
	v_add_f16_e32 v6, v1, v6
	v_mov_b32_e32 v1, 0
	v_add_f16_e32 v94, v94, v95
	v_fma_f16 v95, v39, s11, v40
	v_mov_b32_e32 v16, s3
	v_lshlrev_b64 v[0:1], 2, v[0:1]
	v_add_f16_e32 v94, v94, v95
	v_fma_f16 v95, v51, s6, v52
	v_addc_co_u32_e32 v3, vcc, v16, v3, vcc
	v_add_f16_e32 v94, v94, v95
	v_fma_f16 v95, v54, s0, v55
	v_add_f16_e32 v4, v23, v4
	v_add_co_u32_e32 v0, vcc, v2, v0
	v_add_f16_e32 v94, v94, v95
	v_addc_co_u32_e32 v1, vcc, v3, v1, vcc
	v_pack_b32_f16 v2, v4, v5
	global_store_dword v[0:1], v2, off
	v_pack_b32_f16 v2, v94, v93
	global_store_dword v[0:1], v2, off offset:588
	v_pack_b32_f16 v2, v88, v82
	global_store_dword v[0:1], v2, off offset:1176
	;; [unrolled: 2-line block ×6, first 2 shown]
	v_add_co_u32_e32 v0, vcc, 0x1000, v0
	v_pack_b32_f16 v2, v10, v9
	v_addc_co_u32_e32 v1, vcc, 0, v1, vcc
	global_store_dword v[0:1], v2, off offset:20
	v_pack_b32_f16 v2, v12, v11
	global_store_dword v[0:1], v2, off offset:608
	v_pack_b32_f16 v2, v14, v13
	;; [unrolled: 2-line block ×3, first 2 shown]
	global_store_dword v[0:1], v2, off offset:1784
	s_endpgm
	.section	.rodata,"a",@progbits
	.p2align	6, 0x0
	.amdhsa_kernel fft_rtc_back_len1617_factors_3_7_7_11_wgs_231_tpt_231_half_ip_CI_unitstride_sbrr_dirReg
		.amdhsa_group_segment_fixed_size 0
		.amdhsa_private_segment_fixed_size 0
		.amdhsa_kernarg_size 88
		.amdhsa_user_sgpr_count 6
		.amdhsa_user_sgpr_private_segment_buffer 1
		.amdhsa_user_sgpr_dispatch_ptr 0
		.amdhsa_user_sgpr_queue_ptr 0
		.amdhsa_user_sgpr_kernarg_segment_ptr 1
		.amdhsa_user_sgpr_dispatch_id 0
		.amdhsa_user_sgpr_flat_scratch_init 0
		.amdhsa_user_sgpr_private_segment_size 0
		.amdhsa_uses_dynamic_stack 0
		.amdhsa_system_sgpr_private_segment_wavefront_offset 0
		.amdhsa_system_sgpr_workgroup_id_x 1
		.amdhsa_system_sgpr_workgroup_id_y 0
		.amdhsa_system_sgpr_workgroup_id_z 0
		.amdhsa_system_sgpr_workgroup_info 0
		.amdhsa_system_vgpr_workitem_id 0
		.amdhsa_next_free_vgpr 96
		.amdhsa_next_free_sgpr 22
		.amdhsa_reserve_vcc 1
		.amdhsa_reserve_flat_scratch 0
		.amdhsa_float_round_mode_32 0
		.amdhsa_float_round_mode_16_64 0
		.amdhsa_float_denorm_mode_32 3
		.amdhsa_float_denorm_mode_16_64 3
		.amdhsa_dx10_clamp 1
		.amdhsa_ieee_mode 1
		.amdhsa_fp16_overflow 0
		.amdhsa_exception_fp_ieee_invalid_op 0
		.amdhsa_exception_fp_denorm_src 0
		.amdhsa_exception_fp_ieee_div_zero 0
		.amdhsa_exception_fp_ieee_overflow 0
		.amdhsa_exception_fp_ieee_underflow 0
		.amdhsa_exception_fp_ieee_inexact 0
		.amdhsa_exception_int_div_zero 0
	.end_amdhsa_kernel
	.text
.Lfunc_end0:
	.size	fft_rtc_back_len1617_factors_3_7_7_11_wgs_231_tpt_231_half_ip_CI_unitstride_sbrr_dirReg, .Lfunc_end0-fft_rtc_back_len1617_factors_3_7_7_11_wgs_231_tpt_231_half_ip_CI_unitstride_sbrr_dirReg
                                        ; -- End function
	.section	.AMDGPU.csdata,"",@progbits
; Kernel info:
; codeLenInByte = 6172
; NumSgprs: 26
; NumVgprs: 96
; ScratchSize: 0
; MemoryBound: 0
; FloatMode: 240
; IeeeMode: 1
; LDSByteSize: 0 bytes/workgroup (compile time only)
; SGPRBlocks: 3
; VGPRBlocks: 23
; NumSGPRsForWavesPerEU: 26
; NumVGPRsForWavesPerEU: 96
; Occupancy: 2
; WaveLimiterHint : 1
; COMPUTE_PGM_RSRC2:SCRATCH_EN: 0
; COMPUTE_PGM_RSRC2:USER_SGPR: 6
; COMPUTE_PGM_RSRC2:TRAP_HANDLER: 0
; COMPUTE_PGM_RSRC2:TGID_X_EN: 1
; COMPUTE_PGM_RSRC2:TGID_Y_EN: 0
; COMPUTE_PGM_RSRC2:TGID_Z_EN: 0
; COMPUTE_PGM_RSRC2:TIDIG_COMP_CNT: 0
	.type	__hip_cuid_f6db27279902fc35,@object ; @__hip_cuid_f6db27279902fc35
	.section	.bss,"aw",@nobits
	.globl	__hip_cuid_f6db27279902fc35
__hip_cuid_f6db27279902fc35:
	.byte	0                               ; 0x0
	.size	__hip_cuid_f6db27279902fc35, 1

	.ident	"AMD clang version 19.0.0git (https://github.com/RadeonOpenCompute/llvm-project roc-6.4.0 25133 c7fe45cf4b819c5991fe208aaa96edf142730f1d)"
	.section	".note.GNU-stack","",@progbits
	.addrsig
	.addrsig_sym __hip_cuid_f6db27279902fc35
	.amdgpu_metadata
---
amdhsa.kernels:
  - .args:
      - .actual_access:  read_only
        .address_space:  global
        .offset:         0
        .size:           8
        .value_kind:     global_buffer
      - .offset:         8
        .size:           8
        .value_kind:     by_value
      - .actual_access:  read_only
        .address_space:  global
        .offset:         16
        .size:           8
        .value_kind:     global_buffer
      - .actual_access:  read_only
        .address_space:  global
        .offset:         24
        .size:           8
        .value_kind:     global_buffer
      - .offset:         32
        .size:           8
        .value_kind:     by_value
      - .actual_access:  read_only
        .address_space:  global
        .offset:         40
        .size:           8
        .value_kind:     global_buffer
      - .actual_access:  read_only
        .address_space:  global
        .offset:         48
        .size:           8
        .value_kind:     global_buffer
      - .offset:         56
        .size:           4
        .value_kind:     by_value
      - .actual_access:  read_only
        .address_space:  global
        .offset:         64
        .size:           8
        .value_kind:     global_buffer
      - .actual_access:  read_only
        .address_space:  global
        .offset:         72
        .size:           8
        .value_kind:     global_buffer
      - .address_space:  global
        .offset:         80
        .size:           8
        .value_kind:     global_buffer
    .group_segment_fixed_size: 0
    .kernarg_segment_align: 8
    .kernarg_segment_size: 88
    .language:       OpenCL C
    .language_version:
      - 2
      - 0
    .max_flat_workgroup_size: 231
    .name:           fft_rtc_back_len1617_factors_3_7_7_11_wgs_231_tpt_231_half_ip_CI_unitstride_sbrr_dirReg
    .private_segment_fixed_size: 0
    .sgpr_count:     26
    .sgpr_spill_count: 0
    .symbol:         fft_rtc_back_len1617_factors_3_7_7_11_wgs_231_tpt_231_half_ip_CI_unitstride_sbrr_dirReg.kd
    .uniform_work_group_size: 1
    .uses_dynamic_stack: false
    .vgpr_count:     96
    .vgpr_spill_count: 0
    .wavefront_size: 64
amdhsa.target:   amdgcn-amd-amdhsa--gfx906
amdhsa.version:
  - 1
  - 2
...

	.end_amdgpu_metadata
